;; amdgpu-corpus repo=ROCm/rocFFT kind=compiled arch=gfx906 opt=O3
	.text
	.amdgcn_target "amdgcn-amd-amdhsa--gfx906"
	.amdhsa_code_object_version 6
	.protected	fft_rtc_fwd_len256_factors_8_4_8_wgs_256_tpt_32_half_ip_CI_sbcc_twdbase8_3step_dirReg_intrinsicRead ; -- Begin function fft_rtc_fwd_len256_factors_8_4_8_wgs_256_tpt_32_half_ip_CI_sbcc_twdbase8_3step_dirReg_intrinsicRead
	.globl	fft_rtc_fwd_len256_factors_8_4_8_wgs_256_tpt_32_half_ip_CI_sbcc_twdbase8_3step_dirReg_intrinsicRead
	.p2align	8
	.type	fft_rtc_fwd_len256_factors_8_4_8_wgs_256_tpt_32_half_ip_CI_sbcc_twdbase8_3step_dirReg_intrinsicRead,@function
fft_rtc_fwd_len256_factors_8_4_8_wgs_256_tpt_32_half_ip_CI_sbcc_twdbase8_3step_dirReg_intrinsicRead: ; @fft_rtc_fwd_len256_factors_8_4_8_wgs_256_tpt_32_half_ip_CI_sbcc_twdbase8_3step_dirReg_intrinsicRead
; %bb.0:
	s_load_dwordx4 s[0:3], s[4:5], 0x18
	s_mov_b32 s7, 0
	s_mov_b64 s[24:25], 0
	s_waitcnt lgkmcnt(0)
	s_load_dwordx2 s[14:15], s[0:1], 0x8
	s_waitcnt lgkmcnt(0)
	s_add_u32 s8, s14, -1
	s_addc_u32 s9, s15, -1
	s_lshr_b64 s[8:9], s[8:9], 3
	s_add_u32 s22, s8, 1
	s_addc_u32 s23, s9, 0
	v_mov_b32_e32 v1, s22
	v_mov_b32_e32 v2, s23
	v_cmp_lt_u64_e32 vcc, s[6:7], v[1:2]
	s_cbranch_vccnz .LBB0_2
; %bb.1:
	v_cvt_f32_u32_e32 v1, s22
	s_sub_i32 s8, 0, s22
	s_mov_b32 s25, s7
	v_rcp_iflag_f32_e32 v1, v1
	v_mul_f32_e32 v1, 0x4f7ffffe, v1
	v_cvt_u32_f32_e32 v1, v1
	v_readfirstlane_b32 s9, v1
	s_mul_i32 s8, s8, s9
	s_mul_hi_u32 s8, s9, s8
	s_add_i32 s9, s9, s8
	s_mul_hi_u32 s8, s6, s9
	s_mul_i32 s10, s8, s22
	s_sub_i32 s10, s6, s10
	s_add_i32 s9, s8, 1
	s_sub_i32 s11, s10, s22
	s_cmp_ge_u32 s10, s22
	s_cselect_b32 s8, s9, s8
	s_cselect_b32 s10, s11, s10
	s_add_i32 s9, s8, 1
	s_cmp_ge_u32 s10, s22
	s_cselect_b32 s24, s9, s8
.LBB0_2:
	s_load_dwordx2 s[12:13], s[4:5], 0x58
	s_load_dwordx4 s[8:11], s[2:3], 0x0
	s_mul_i32 s16, s24, s23
	s_mul_hi_u32 s17, s24, s22
	s_add_i32 s17, s17, s16
	s_mul_i32 s16, s24, s22
	s_sub_u32 s26, s6, s16
	s_subb_u32 s27, 0, s17
	v_mov_b32_e32 v1, s26
	v_alignbit_b32 v1, s27, v1, 29
	s_waitcnt lgkmcnt(0)
	v_mul_lo_u32 v1, s10, v1
	s_load_dwordx2 s[20:21], s[4:5], 0x0
	s_load_dwordx4 s[16:19], s[4:5], 0x8
	s_lshl_b64 s[4:5], s[26:27], 3
	s_mul_hi_u32 s26, s10, s4
	v_add_u32_e32 v1, s26, v1
	s_mul_i32 s26, s11, s4
	v_add_u32_e32 v3, s26, v1
	s_waitcnt lgkmcnt(0)
	v_cmp_lt_u64_e64 s[26:27], s[18:19], 3
	s_mul_i32 s28, s10, s4
	v_mov_b32_e32 v4, s28
	s_and_b64 vcc, exec, s[26:27]
	s_cbranch_vccnz .LBB0_11
; %bb.3:
	s_add_u32 s26, s2, 16
	s_addc_u32 s27, s3, 0
	s_add_u32 s28, s0, 16
	v_mov_b32_e32 v1, s18
	s_addc_u32 s29, s1, 0
	s_mov_b64 s[30:31], 2
	s_mov_b32 s34, 0
	v_mov_b32_e32 v2, s19
	s_branch .LBB0_5
.LBB0_4:                                ;   in Loop: Header=BB0_5 Depth=1
	s_mul_i32 s23, s36, s23
	s_mul_hi_u32 s33, s36, s22
	s_add_i32 s23, s33, s23
	s_mul_i32 s33, s37, s22
	s_add_i32 s23, s23, s33
	s_mul_i32 s33, s0, s37
	s_mul_hi_u32 s35, s0, s36
	s_load_dwordx2 s[38:39], s[26:27], 0x0
	s_add_i32 s33, s35, s33
	s_mul_i32 s35, s1, s36
	s_add_i32 s33, s33, s35
	s_mul_i32 s35, s0, s36
	s_sub_u32 s24, s24, s35
	s_subb_u32 s25, s25, s33
	s_waitcnt lgkmcnt(0)
	s_mul_i32 s25, s38, s25
	s_mul_hi_u32 s33, s38, s24
	s_add_i32 s25, s33, s25
	s_mul_i32 s33, s39, s24
	s_add_i32 s25, s25, s33
	s_mul_i32 s24, s38, s24
	s_add_u32 s30, s30, 1
	v_mov_b32_e32 v5, s25
	v_add_co_u32_e32 v4, vcc, s24, v4
	s_addc_u32 s31, s31, 0
	v_addc_co_u32_e32 v3, vcc, v5, v3, vcc
	s_add_u32 s26, s26, 8
	s_addc_u32 s27, s27, 0
	v_cmp_ge_u64_e32 vcc, s[30:31], v[1:2]
	s_add_u32 s28, s28, 8
	s_mul_i32 s22, s36, s22
	s_addc_u32 s29, s29, 0
	s_mov_b64 s[24:25], s[0:1]
	s_cbranch_vccnz .LBB0_9
.LBB0_5:                                ; =>This Inner Loop Header: Depth=1
	s_load_dwordx2 s[36:37], s[28:29], 0x0
	s_waitcnt lgkmcnt(0)
	s_or_b64 s[0:1], s[24:25], s[36:37]
	s_mov_b32 s35, s1
	s_cmp_lg_u64 s[34:35], 0
	s_cbranch_scc0 .LBB0_7
; %bb.6:                                ;   in Loop: Header=BB0_5 Depth=1
	v_cvt_f32_u32_e32 v5, s36
	v_cvt_f32_u32_e32 v6, s37
	s_sub_u32 s0, 0, s36
	s_subb_u32 s1, 0, s37
	v_mac_f32_e32 v5, 0x4f800000, v6
	v_rcp_f32_e32 v5, v5
	v_mul_f32_e32 v5, 0x5f7ffffc, v5
	v_mul_f32_e32 v6, 0x2f800000, v5
	v_trunc_f32_e32 v6, v6
	v_mac_f32_e32 v5, 0xcf800000, v6
	v_cvt_u32_f32_e32 v6, v6
	v_cvt_u32_f32_e32 v5, v5
	v_readfirstlane_b32 s33, v6
	v_readfirstlane_b32 s35, v5
	s_mul_i32 s38, s0, s33
	s_mul_hi_u32 s40, s0, s35
	s_mul_i32 s39, s1, s35
	s_add_i32 s38, s40, s38
	s_mul_i32 s41, s0, s35
	s_add_i32 s38, s38, s39
	s_mul_hi_u32 s39, s35, s38
	s_mul_i32 s40, s35, s38
	s_mul_hi_u32 s35, s35, s41
	s_add_u32 s35, s35, s40
	s_addc_u32 s39, 0, s39
	s_mul_hi_u32 s42, s33, s41
	s_mul_i32 s41, s33, s41
	s_add_u32 s35, s35, s41
	s_mul_hi_u32 s40, s33, s38
	s_addc_u32 s35, s39, s42
	s_addc_u32 s39, s40, 0
	s_mul_i32 s38, s33, s38
	s_add_u32 s35, s35, s38
	s_addc_u32 s38, 0, s39
	v_add_co_u32_e32 v5, vcc, s35, v5
	s_cmp_lg_u64 vcc, 0
	s_addc_u32 s33, s33, s38
	v_readfirstlane_b32 s38, v5
	s_mul_i32 s35, s0, s33
	s_mul_hi_u32 s39, s0, s38
	s_add_i32 s35, s39, s35
	s_mul_i32 s1, s1, s38
	s_add_i32 s35, s35, s1
	s_mul_i32 s0, s0, s38
	s_mul_hi_u32 s39, s33, s0
	s_mul_i32 s40, s33, s0
	s_mul_i32 s42, s38, s35
	s_mul_hi_u32 s0, s38, s0
	s_mul_hi_u32 s41, s38, s35
	s_add_u32 s0, s0, s42
	s_addc_u32 s38, 0, s41
	s_add_u32 s0, s0, s40
	s_mul_hi_u32 s1, s33, s35
	s_addc_u32 s0, s38, s39
	s_addc_u32 s1, s1, 0
	s_mul_i32 s35, s33, s35
	s_add_u32 s0, s0, s35
	s_addc_u32 s1, 0, s1
	v_add_co_u32_e32 v5, vcc, s0, v5
	s_cmp_lg_u64 vcc, 0
	s_addc_u32 s0, s33, s1
	v_readfirstlane_b32 s35, v5
	s_mul_i32 s33, s24, s0
	s_mul_hi_u32 s38, s24, s35
	s_mul_hi_u32 s1, s24, s0
	s_add_u32 s33, s38, s33
	s_addc_u32 s1, 0, s1
	s_mul_hi_u32 s39, s25, s35
	s_mul_i32 s35, s25, s35
	s_add_u32 s33, s33, s35
	s_mul_hi_u32 s38, s25, s0
	s_addc_u32 s1, s1, s39
	s_addc_u32 s33, s38, 0
	s_mul_i32 s0, s25, s0
	s_add_u32 s35, s1, s0
	s_addc_u32 s33, 0, s33
	s_mul_i32 s0, s36, s33
	s_mul_hi_u32 s1, s36, s35
	s_add_i32 s0, s1, s0
	s_mul_i32 s1, s37, s35
	s_add_i32 s38, s0, s1
	s_mul_i32 s1, s36, s35
	v_mov_b32_e32 v5, s1
	s_sub_i32 s0, s25, s38
	v_sub_co_u32_e32 v5, vcc, s24, v5
	s_cmp_lg_u64 vcc, 0
	s_subb_u32 s39, s0, s37
	v_subrev_co_u32_e64 v6, s[0:1], s36, v5
	s_cmp_lg_u64 s[0:1], 0
	s_subb_u32 s0, s39, 0
	s_cmp_ge_u32 s0, s37
	v_readfirstlane_b32 s39, v6
	s_cselect_b32 s1, -1, 0
	s_cmp_ge_u32 s39, s36
	s_cselect_b32 s39, -1, 0
	s_cmp_eq_u32 s0, s37
	s_cselect_b32 s0, s39, s1
	s_add_u32 s1, s35, 1
	s_addc_u32 s39, s33, 0
	s_add_u32 s40, s35, 2
	s_addc_u32 s41, s33, 0
	s_cmp_lg_u32 s0, 0
	s_cselect_b32 s0, s40, s1
	s_cselect_b32 s1, s41, s39
	s_cmp_lg_u64 vcc, 0
	s_subb_u32 s38, s25, s38
	s_cmp_ge_u32 s38, s37
	v_readfirstlane_b32 s40, v5
	s_cselect_b32 s39, -1, 0
	s_cmp_ge_u32 s40, s36
	s_cselect_b32 s40, -1, 0
	s_cmp_eq_u32 s38, s37
	s_cselect_b32 s38, s40, s39
	s_cmp_lg_u32 s38, 0
	s_cselect_b32 s1, s1, s33
	s_cselect_b32 s0, s0, s35
	s_cbranch_execnz .LBB0_4
	s_branch .LBB0_8
.LBB0_7:                                ;   in Loop: Header=BB0_5 Depth=1
                                        ; implicit-def: $sgpr0_sgpr1
.LBB0_8:                                ;   in Loop: Header=BB0_5 Depth=1
	v_cvt_f32_u32_e32 v5, s36
	s_sub_i32 s0, 0, s36
	v_rcp_iflag_f32_e32 v5, v5
	v_mul_f32_e32 v5, 0x4f7ffffe, v5
	v_cvt_u32_f32_e32 v5, v5
	v_readfirstlane_b32 s1, v5
	s_mul_i32 s0, s0, s1
	s_mul_hi_u32 s0, s1, s0
	s_add_i32 s1, s1, s0
	s_mul_hi_u32 s0, s24, s1
	s_mul_i32 s33, s0, s36
	s_sub_i32 s33, s24, s33
	s_add_i32 s1, s0, 1
	s_sub_i32 s35, s33, s36
	s_cmp_ge_u32 s33, s36
	s_cselect_b32 s0, s1, s0
	s_cselect_b32 s33, s35, s33
	s_add_i32 s1, s0, 1
	s_cmp_ge_u32 s33, s36
	s_cselect_b32 s0, s1, s0
	s_mov_b32 s1, s34
	s_branch .LBB0_4
.LBB0_9:
	v_mov_b32_e32 v1, s22
	v_mov_b32_e32 v2, s23
	v_cmp_lt_u64_e32 vcc, s[6:7], v[1:2]
	s_mov_b64 s[24:25], 0
	s_cbranch_vccnz .LBB0_11
; %bb.10:
	v_cvt_f32_u32_e32 v1, s22
	s_sub_i32 s0, 0, s22
	v_rcp_iflag_f32_e32 v1, v1
	v_mul_f32_e32 v1, 0x4f7ffffe, v1
	v_cvt_u32_f32_e32 v1, v1
	v_readfirstlane_b32 s1, v1
	s_mul_i32 s0, s0, s1
	s_mul_hi_u32 s0, s1, s0
	s_add_i32 s1, s1, s0
	s_mul_hi_u32 s0, s6, s1
	s_mul_i32 s7, s0, s22
	s_sub_i32 s6, s6, s7
	s_add_i32 s1, s0, 1
	s_sub_i32 s7, s6, s22
	s_cmp_ge_u32 s6, s22
	s_cselect_b32 s0, s1, s0
	s_cselect_b32 s6, s7, s6
	s_add_i32 s1, s0, 1
	s_cmp_ge_u32 s6, s22
	s_cselect_b32 s24, s1, s0
.LBB0_11:
	s_lshl_b64 s[0:1], s[18:19], 3
	s_add_u32 s0, s2, s0
	s_addc_u32 s1, s3, s1
	s_load_dwordx2 s[0:1], s[0:1], 0x0
	v_and_b32_e32 v9, 7, v0
	v_lshrrev_b32_e32 v12, 3, v0
	v_mul_lo_u32 v10, s8, v12
	v_mov_b32_e32 v7, s14
	s_waitcnt lgkmcnt(0)
	s_mul_i32 s1, s1, s24
	s_mul_hi_u32 s2, s0, s24
	s_mul_i32 s0, s0, s24
	s_add_i32 s1, s2, s1
	v_mov_b32_e32 v2, s1
	v_add_co_u32_e32 v1, vcc, s0, v4
	v_addc_co_u32_e32 v2, vcc, v2, v3, vcc
	v_mad_u64_u32 v[3:4], s[2:3], s10, v9, 0
	s_add_u32 s0, s4, 8
	v_or_b32_e32 v5, s4, v9
	v_mov_b32_e32 v6, s5
	s_addc_u32 s1, s5, 0
	v_mov_b32_e32 v8, s15
	v_cmp_le_u64_e32 vcc, s[0:1], v[7:8]
	v_cmp_gt_u64_e64 s[0:1], s[14:15], v[5:6]
	v_add_lshl_u32 v6, v3, v10, 2
	v_or_b32_e32 v20, 32, v12
	v_or_b32_e32 v10, 64, v12
	v_mul_lo_u32 v8, s8, v20
	v_mul_lo_u32 v10, s8, v10
	v_lshlrev_b32_e32 v7, 2, v1
	s_or_b64 vcc, vcc, s[0:1]
	v_readfirstlane_b32 s0, v7
	v_add_lshl_u32 v7, v3, v8, 2
	v_add_lshl_u32 v8, v3, v10, 2
	v_or_b32_e32 v10, 0x60, v12
	v_mul_lo_u32 v11, s8, v10
	v_or_b32_e32 v13, 0x80, v12
	v_mul_lo_u32 v13, s8, v13
	v_cndmask_b32_e32 v6, -1, v6, vcc
	v_add_lshl_u32 v11, v3, v11, 2
	v_cndmask_b32_e32 v14, -1, v11, vcc
	v_add_lshl_u32 v11, v3, v13, 2
	v_or_b32_e32 v13, 0xc0, v12
	v_mul_lo_u32 v13, s8, v13
	v_cndmask_b32_e32 v15, -1, v11, vcc
	v_or_b32_e32 v11, 0xa0, v12
	v_mul_lo_u32 v16, s8, v11
	v_add_lshl_u32 v11, v3, v13, 2
	s_mov_b32 s15, 0x20000
	s_mov_b32 s14, -2
	v_cndmask_b32_e32 v13, -1, v11, vcc
	v_or_b32_e32 v11, 0xe0, v12
	v_cndmask_b32_e32 v7, -1, v7, vcc
	v_cndmask_b32_e32 v8, -1, v8, vcc
	buffer_load_dword v17, v6, s[12:15], s0 offen
	buffer_load_dword v18, v7, s[12:15], s0 offen
	;; [unrolled: 1-line block ×3, first 2 shown]
	v_mul_lo_u32 v6, s8, v11
	v_add_lshl_u32 v8, v3, v16, 2
	buffer_load_dword v7, v15, s[12:15], s0 offen
	v_cndmask_b32_e32 v8, -1, v8, vcc
	v_add_lshl_u32 v6, v3, v6, 2
	v_cndmask_b32_e32 v6, -1, v6, vcc
	buffer_load_dword v15, v6, s[12:15], s0 offen
	buffer_load_dword v16, v13, s[12:15], s0 offen
	;; [unrolled: 1-line block ×4, first 2 shown]
	s_mov_b32 s1, 0xffff
	s_movk_i32 s0, 0x39a8
	v_lshlrev_b32_e32 v6, 8, v12
	v_lshlrev_b32_e32 v23, 2, v9
	v_add3_u32 v6, 0, v6, v23
	s_movk_i32 s2, 0x60
	s_waitcnt vmcnt(4)
	v_pk_add_f16 v7, v17, v7 neg_lo:[0,1] neg_hi:[0,1]
	v_pk_fma_f16 v17, v17, 2.0, v7 op_sel_hi:[1,0,1] neg_lo:[0,0,1] neg_hi:[0,0,1]
	s_waitcnt vmcnt(2)
	v_pk_add_f16 v8, v19, v16 op_sel:[1,1] op_sel_hi:[0,0] neg_lo:[0,1] neg_hi:[0,1]
	s_waitcnt vmcnt(1)
	v_pk_add_f16 v13, v18, v21 neg_lo:[0,1] neg_hi:[0,1]
	s_waitcnt vmcnt(0)
	v_pk_add_f16 v14, v22, v15 op_sel:[1,1] op_sel_hi:[0,0] neg_lo:[0,1] neg_hi:[0,1]
	v_pk_fma_f16 v15, v19, 2.0, v8 op_sel:[1,0,0] op_sel_hi:[0,0,1] neg_lo:[0,0,1] neg_hi:[0,0,1]
	v_pk_add_f16 v16, v7, v8 neg_lo:[0,1] neg_hi:[0,1]
	v_pk_add_f16 v8, v7, v8
	v_pk_fma_f16 v19, v22, 2.0, v14 op_sel:[1,0,0] op_sel_hi:[0,0,1] neg_lo:[0,0,1] neg_hi:[0,0,1]
	v_pk_add_f16 v21, v13, v14 neg_lo:[0,1] neg_hi:[0,1]
	v_pk_add_f16 v14, v13, v14
	v_pk_fma_f16 v18, v18, 2.0, v13 op_sel_hi:[1,0,1] neg_lo:[0,0,1] neg_hi:[0,0,1]
	v_bfi_b32 v8, s1, v16, v8
	v_bfi_b32 v14, s1, v21, v14
	v_pk_add_f16 v15, v17, v15 op_sel:[0,1] op_sel_hi:[1,0] neg_lo:[0,1] neg_hi:[0,1]
	v_pk_add_f16 v16, v18, v19 op_sel:[1,0] op_sel_hi:[0,1] neg_lo:[0,1] neg_hi:[0,1]
	v_pk_add_f16 v19, v15, v16 neg_lo:[0,1] neg_hi:[0,1]
	v_pk_add_f16 v21, v15, v16
	v_pk_mul_f16 v22, v14, s0 op_sel_hi:[1,0]
	v_pk_fma_f16 v24, v14, s0, v8 op_sel_hi:[1,0,1]
	v_pk_fma_f16 v13, v13, 2.0, v14 op_sel_hi:[1,0,1] neg_lo:[0,0,1] neg_hi:[0,0,1]
	v_bfi_b32 v14, s1, v19, v21
	v_pk_add_f16 v19, v24, v22 op_sel:[0,1] op_sel_hi:[1,0] neg_lo:[0,1] neg_hi:[0,1]
	v_pk_add_f16 v21, v24, v22 op_sel:[0,1] op_sel_hi:[1,0]
	v_pk_fma_f16 v7, v7, 2.0, v8 op_sel_hi:[1,0,1] neg_lo:[0,0,1] neg_hi:[0,0,1]
	v_bfi_b32 v19, s1, v19, v21
	v_pk_mul_f16 v22, v13, s0 op_sel_hi:[1,0]
	v_pk_fma_f16 v13, v13, s0, v7 op_sel_hi:[1,0,1] neg_lo:[1,0,0] neg_hi:[1,0,0]
	v_pk_fma_f16 v21, v15, 2.0, v14 op_sel_hi:[1,0,1] neg_lo:[0,0,1] neg_hi:[0,0,1]
	v_pk_fma_f16 v8, v8, 2.0, v19 op_sel_hi:[1,0,1] neg_lo:[0,0,1] neg_hi:[0,0,1]
	ds_write2_b32 v6, v21, v8 offset0:16 offset1:24
	v_pk_add_f16 v8, v13, v22 op_sel:[0,1] op_sel_hi:[1,0] neg_lo:[0,1] neg_hi:[0,1]
	v_pk_add_f16 v13, v13, v22 op_sel:[0,1] op_sel_hi:[1,0]
	v_bfi_b32 v8, s1, v8, v13
	v_pk_fma_f16 v13, v17, 2.0, v15 op_sel_hi:[1,0,1] neg_lo:[0,0,1] neg_hi:[0,0,1]
	v_pk_fma_f16 v15, v18, 2.0, v16 op_sel:[1,0,0] op_sel_hi:[0,0,1] neg_lo:[0,0,1] neg_hi:[0,0,1]
	v_pk_add_f16 v15, v13, v15 op_sel:[0,1] op_sel_hi:[1,0] neg_lo:[0,1] neg_hi:[0,1]
	v_lshrrev_b32_e32 v16, 16, v13
	v_lshrrev_b32_e32 v17, 16, v15
	v_fma_f16 v16, v16, 2.0, -v17
	v_fma_f16 v13, v13, 2.0, -v15
	v_lshlrev_b32_e32 v16, 16, v16
	v_or_b32_sdwa v13, v16, v13 dst_sel:DWORD dst_unused:UNUSED_PAD src0_sel:DWORD src1_sel:WORD_0
	v_pk_fma_f16 v7, v7, 2.0, v8 op_sel_hi:[1,0,1] neg_lo:[0,0,1] neg_hi:[0,0,1]
	v_bfe_u32 v21, v0, 3, 3
	ds_write2_b32 v6, v13, v7 offset1:8
	ds_write2_b32 v6, v15, v8 offset0:32 offset1:40
	ds_write2_b32 v6, v14, v19 offset0:48 offset1:56
	v_mul_u32_u24_e32 v7, 3, v21
	v_lshlrev_b32_e32 v7, 2, v7
	s_waitcnt lgkmcnt(0)
	s_barrier
	global_load_dwordx3 v[13:15], v7, s[20:21]
	v_lshrrev_b32_e32 v7, 1, v0
	s_movk_i32 s1, 0xff20
	v_and_or_b32 v7, v7, s2, v21
	v_lshlrev_b32_e32 v22, 5, v7
	v_lshlrev_b32_e32 v7, 5, v20
	v_mad_i32_i24 v12, v12, s1, v6
	v_add3_u32 v6, 0, v7, v23
	ds_read2st64_b32 v[7:8], v12 offset0:12 offset1:16
	ds_read2st64_b32 v[16:17], v12 offset0:20 offset1:24
	ds_read2st64_b32 v[18:19], v12 offset1:8
	ds_read_b32 v24, v12 offset:7168
	ds_read_b32 v25, v6
	s_waitcnt lgkmcnt(4)
	v_lshrrev_b32_e32 v26, 16, v8
	v_lshrrev_b32_e32 v27, 16, v7
	s_waitcnt lgkmcnt(3)
	v_lshrrev_b32_e32 v28, 16, v17
	v_lshrrev_b32_e32 v29, 16, v16
	;; [unrolled: 3-line block ×3, first 2 shown]
	s_waitcnt lgkmcnt(1)
	v_lshrrev_b32_e32 v30, 16, v24
	s_waitcnt vmcnt(0) lgkmcnt(0)
	s_barrier
	s_movk_i32 s1, 0xe0
	v_mul_f16_sdwa v33, v14, v26 dst_sel:DWORD dst_unused:UNUSED_PAD src0_sel:WORD_1 src1_sel:DWORD
	v_mul_f16_sdwa v34, v13, v27 dst_sel:DWORD dst_unused:UNUSED_PAD src0_sel:WORD_1 src1_sel:DWORD
	;; [unrolled: 1-line block ×8, first 2 shown]
	v_fma_f16 v8, v14, v8, -v33
	v_fma_f16 v7, v13, v7, -v34
	v_mul_f16_sdwa v33, v13, v19 dst_sel:DWORD dst_unused:UNUSED_PAD src0_sel:WORD_1 src1_sel:DWORD
	v_mul_f16_sdwa v34, v13, v31 dst_sel:DWORD dst_unused:UNUSED_PAD src0_sel:WORD_1 src1_sel:DWORD
	v_fma_f16 v17, v15, v17, -v37
	v_fma_f16 v16, v14, v16, -v38
	v_fma_f16 v26, v14, v26, v35
	v_fma_f16 v28, v15, v28, v39
	v_fma_f16 v27, v13, v27, v36
	v_fma_f16 v14, v14, v29, v40
	v_fma_f16 v29, v13, v31, v33
	v_fma_f16 v13, v13, v19, -v34
	v_sub_f16_e32 v8, v18, v8
	v_sub_f16_e32 v19, v32, v26
	;; [unrolled: 1-line block ×4, first 2 shown]
	v_fma_f16 v18, v18, 2.0, -v8
	v_fma_f16 v28, v32, 2.0, -v19
	;; [unrolled: 1-line block ×4, first 2 shown]
	v_sub_f16_e32 v26, v8, v26
	v_add_f16_e32 v17, v19, v17
	v_fma_f16 v8, v8, 2.0, -v26
	v_fma_f16 v19, v19, 2.0, -v17
	v_sub_f16_e32 v13, v18, v13
	v_sub_f16_e32 v29, v28, v29
	v_pack_b32_f16 v8, v8, v19
	v_fma_f16 v18, v18, 2.0, -v13
	v_fma_f16 v19, v28, 2.0, -v29
	v_pack_b32_f16 v18, v18, v19
	v_add3_u32 v19, 0, v22, v23
	v_mul_f16_sdwa v41, v15, v30 dst_sel:DWORD dst_unused:UNUSED_PAD src0_sel:WORD_1 src1_sel:DWORD
	v_mul_f16_sdwa v42, v15, v24 dst_sel:DWORD dst_unused:UNUSED_PAD src0_sel:WORD_1 src1_sel:DWORD
	ds_write2st64_b32 v19, v18, v8 offset1:1
	v_pack_b32_f16 v8, v13, v29
	v_pack_b32_f16 v13, v26, v17
	v_fma_f16 v24, v15, v24, -v41
	v_fma_f16 v15, v15, v30, v42
	ds_write2st64_b32 v19, v8, v13 offset0:2 offset1:3
	v_sub_f16_e32 v13, v25, v16
	v_lshrrev_b32_e32 v16, 16, v25
	v_sub_f16_e32 v14, v16, v14
	v_sub_f16_e32 v18, v7, v24
	;; [unrolled: 1-line block ×3, first 2 shown]
	v_fma_f16 v17, v25, 2.0, -v13
	v_fma_f16 v16, v16, 2.0, -v14
	;; [unrolled: 1-line block ×4, first 2 shown]
	v_sub_f16_e32 v7, v17, v7
	v_sub_f16_e32 v19, v16, v19
	v_lshlrev_b32_e32 v8, 2, v20
	v_fma_f16 v17, v17, 2.0, -v7
	v_fma_f16 v16, v16, 2.0, -v19
	v_and_or_b32 v8, v8, s1, v21
	v_pack_b32_f16 v16, v17, v16
	v_sub_f16_e32 v15, v13, v15
	v_add_f16_e32 v17, v14, v18
	v_lshlrev_b32_e32 v8, 5, v8
	v_fma_f16 v13, v13, 2.0, -v15
	v_fma_f16 v14, v14, 2.0, -v17
	v_add3_u32 v8, 0, v8, v23
	v_pack_b32_f16 v13, v13, v14
	ds_write2st64_b32 v8, v16, v13 offset1:1
	v_pack_b32_f16 v7, v7, v19
	v_pack_b32_f16 v13, v15, v17
	ds_write2st64_b32 v8, v7, v13 offset0:2 offset1:3
	s_waitcnt lgkmcnt(0)
	s_barrier
	s_and_saveexec_b64 s[2:3], vcc
	s_cbranch_execz .LBB0_13
; %bb.12:
	v_bfe_u32 v8, v0, 3, 5
	v_mul_u32_u24_e32 v7, 7, v8
	v_lshlrev_b32_e32 v7, 2, v7
	global_load_dwordx4 v[13:16], v7, s[20:21] offset:96
	global_load_dwordx3 v[17:19], v7, s[20:21] offset:112
	ds_read2st64_b32 v[20:21], v12 offset0:12 offset1:16
	ds_read_b32 v24, v6
	ds_read_b32 v25, v12 offset:7168
	ds_read2st64_b32 v[6:7], v12 offset1:8
	ds_read2st64_b32 v[22:23], v12 offset0:20 offset1:24
	v_mul_lo_u32 v26, v5, v10
	v_mad_u64_u32 v[9:10], s[2:3], s11, v9, v[4:5]
	v_mul_lo_u32 v11, v5, v11
	v_or_b32_e32 v4, 0xc0, v8
	v_or_b32_e32 v10, 0xa0, v8
	v_mul_lo_u32 v4, v5, v4
	v_mul_lo_u32 v10, v5, v10
	s_waitcnt lgkmcnt(4)
	v_lshrrev_b32_e32 v32, 16, v20
	v_lshrrev_b32_e32 v33, 16, v21
	s_waitcnt lgkmcnt(3)
	v_lshrrev_b32_e32 v31, 16, v24
	v_mov_b32_e32 v12, 2
	s_waitcnt lgkmcnt(1)
	v_lshrrev_b32_e32 v34, 16, v7
	v_lshlrev_b32_sdwa v29, v12, v11 dst_sel:DWORD dst_unused:UNUSED_PAD src0_sel:DWORD src1_sel:BYTE_0
	v_lshlrev_b32_sdwa v30, v12, v11 dst_sel:DWORD dst_unused:UNUSED_PAD src0_sel:DWORD src1_sel:BYTE_1
	v_lshlrev_b32_sdwa v11, v12, v11 dst_sel:DWORD dst_unused:UNUSED_PAD src0_sel:DWORD src1_sel:BYTE_2
	v_lshlrev_b32_sdwa v37, v12, v4 dst_sel:DWORD dst_unused:UNUSED_PAD src0_sel:DWORD src1_sel:BYTE_2
	v_or_b32_e32 v27, 0x80, v8
	v_or_b32_e32 v28, 64, v8
	v_mul_lo_u32 v27, v5, v27
	v_mul_lo_u32 v28, v5, v28
	s_waitcnt lgkmcnt(0)
	v_lshrrev_b32_e32 v35, 16, v22
	v_lshrrev_b32_e32 v36, 16, v23
	s_mov_b32 s1, 0xb9a8
	s_waitcnt vmcnt(1)
	v_mul_f16_sdwa v39, v15, v32 dst_sel:DWORD dst_unused:UNUSED_PAD src0_sel:WORD_1 src1_sel:DWORD
	v_mul_f16_sdwa v40, v16, v33 dst_sel:DWORD dst_unused:UNUSED_PAD src0_sel:WORD_1 src1_sel:DWORD
	;; [unrolled: 1-line block ×3, first 2 shown]
	v_fma_f16 v20, v15, v20, -v39
	v_fma_f16 v39, v16, v21, -v40
	v_mul_f16_sdwa v21, v16, v21 dst_sel:DWORD dst_unused:UNUSED_PAD src0_sel:WORD_1 src1_sel:DWORD
	v_mul_f16_sdwa v40, v13, v31 dst_sel:DWORD dst_unused:UNUSED_PAD src0_sel:WORD_1 src1_sel:DWORD
	v_fma_f16 v40, v13, v24, -v40
	v_mul_f16_sdwa v24, v13, v24 dst_sel:DWORD dst_unused:UNUSED_PAD src0_sel:WORD_1 src1_sel:DWORD
	v_fma_f16 v15, v15, v32, v38
	v_fma_f16 v16, v16, v33, v21
	v_mul_f16_sdwa v21, v14, v7 dst_sel:DWORD dst_unused:UNUSED_PAD src0_sel:WORD_1 src1_sel:DWORD
	v_mul_f16_sdwa v32, v14, v34 dst_sel:DWORD dst_unused:UNUSED_PAD src0_sel:WORD_1 src1_sel:DWORD
	v_fma_f16 v13, v13, v31, v24
	v_lshlrev_b32_sdwa v24, v12, v4 dst_sel:DWORD dst_unused:UNUSED_PAD src0_sel:DWORD src1_sel:BYTE_0
	v_lshlrev_b32_sdwa v4, v12, v4 dst_sel:DWORD dst_unused:UNUSED_PAD src0_sel:DWORD src1_sel:BYTE_1
	v_lshlrev_b32_sdwa v31, v12, v10 dst_sel:DWORD dst_unused:UNUSED_PAD src0_sel:DWORD src1_sel:BYTE_2
	v_fma_f16 v21, v14, v34, v21
	v_fma_f16 v7, v14, v7, -v32
	v_lshlrev_b32_sdwa v14, v12, v10 dst_sel:DWORD dst_unused:UNUSED_PAD src0_sel:DWORD src1_sel:BYTE_0
	global_load_dword v32, v29, s[16:17]
	global_load_dword v33, v30, s[16:17] offset:1024
	global_load_dword v34, v37, s[16:17] offset:2048
	global_load_dword v38, v24, s[16:17]
	global_load_dword v41, v4, s[16:17] offset:1024
	global_load_dword v42, v31, s[16:17] offset:2048
	global_load_dword v43, v14, s[16:17]
	global_load_dword v44, v11, s[16:17] offset:2048
	v_lshlrev_b32_sdwa v10, v12, v10 dst_sel:DWORD dst_unused:UNUSED_PAD src0_sel:DWORD src1_sel:BYTE_1
	global_load_dword v10, v10, s[16:17] offset:1024
	s_waitcnt vmcnt(9)
	v_mul_f16_sdwa v4, v17, v35 dst_sel:DWORD dst_unused:UNUSED_PAD src0_sel:WORD_1 src1_sel:DWORD
	v_mul_f16_sdwa v11, v18, v36 dst_sel:DWORD dst_unused:UNUSED_PAD src0_sel:WORD_1 src1_sel:DWORD
	;; [unrolled: 1-line block ×3, first 2 shown]
	v_fma_f16 v22, v17, v22, -v4
	v_fma_f16 v11, v18, v23, -v11
	v_mul_f16_sdwa v4, v18, v23 dst_sel:DWORD dst_unused:UNUSED_PAD src0_sel:WORD_1 src1_sel:DWORD
	v_lshrrev_b32_e32 v23, 16, v25
	v_fma_f16 v14, v17, v35, v14
	v_mul_f16_sdwa v17, v25, v19 dst_sel:DWORD dst_unused:UNUSED_PAD src0_sel:DWORD src1_sel:WORD_1
	v_fma_f16 v17, v23, v19, v17
	v_mul_f16_sdwa v23, v23, v19 dst_sel:DWORD dst_unused:UNUSED_PAD src0_sel:DWORD src1_sel:WORD_1
	v_fma_f16 v18, v18, v36, v4
	v_lshlrev_b32_sdwa v4, v12, v26 dst_sel:DWORD dst_unused:UNUSED_PAD src0_sel:DWORD src1_sel:BYTE_2
	v_lshlrev_b32_sdwa v24, v12, v27 dst_sel:DWORD dst_unused:UNUSED_PAD src0_sel:DWORD src1_sel:BYTE_0
	v_fma_f16 v19, v25, v19, -v23
	v_lshlrev_b32_sdwa v23, v12, v26 dst_sel:DWORD dst_unused:UNUSED_PAD src0_sel:DWORD src1_sel:BYTE_1
	v_lshlrev_b32_sdwa v25, v12, v27 dst_sel:DWORD dst_unused:UNUSED_PAD src0_sel:DWORD src1_sel:BYTE_1
	v_lshlrev_b32_sdwa v27, v12, v27 dst_sel:DWORD dst_unused:UNUSED_PAD src0_sel:DWORD src1_sel:BYTE_2
	v_lshlrev_b32_sdwa v29, v12, v28 dst_sel:DWORD dst_unused:UNUSED_PAD src0_sel:DWORD src1_sel:BYTE_2
	global_load_dword v30, v24, s[16:17]
	global_load_dword v31, v25, s[16:17] offset:1024
	global_load_dword v35, v23, s[16:17] offset:1024
	;; [unrolled: 1-line block ×5, first 2 shown]
	v_lshlrev_b32_sdwa v4, v12, v26 dst_sel:DWORD dst_unused:UNUSED_PAD src0_sel:DWORD src1_sel:BYTE_0
	global_load_dword v23, v4, s[16:17]
	v_mov_b32_e32 v4, v9
	v_sub_f16_e32 v22, v40, v22
	v_sub_f16_e32 v17, v15, v17
	;; [unrolled: 1-line block ×6, first 2 shown]
	v_fma_f16 v7, v7, 2.0, -v11
	v_fma_f16 v13, v13, 2.0, -v14
	s_waitcnt vmcnt(15)
	v_lshrrev_b32_e32 v9, 16, v32
	s_waitcnt vmcnt(14)
	v_mul_f16_sdwa v24, v32, v33 dst_sel:DWORD dst_unused:UNUSED_PAD src0_sel:DWORD src1_sel:WORD_1
	v_fma_f16 v24, v9, v33, v24
	v_mul_f16_sdwa v9, v9, v33 dst_sel:DWORD dst_unused:UNUSED_PAD src0_sel:DWORD src1_sel:WORD_1
	v_fma_f16 v9, v32, v33, -v9
	s_waitcnt vmcnt(11)
	v_mul_f16_sdwa v26, v38, v41 dst_sel:DWORD dst_unused:UNUSED_PAD src0_sel:DWORD src1_sel:WORD_1
	v_sub_f16_e32 v33, v22, v17
	s_waitcnt vmcnt(8)
	v_mul_f16_sdwa v25, v24, v44 dst_sel:DWORD dst_unused:UNUSED_PAD src0_sel:DWORD src1_sel:WORD_1
	v_fma_f16 v25, v44, v9, -v25
	v_mul_f16_sdwa v9, v9, v44 dst_sel:DWORD dst_unused:UNUSED_PAD src0_sel:DWORD src1_sel:WORD_1
	v_fma_f16 v9, v44, v24, v9
	v_lshrrev_b32_e32 v24, 16, v38
	v_fma_f16 v26, v24, v41, v26
	v_mul_f16_sdwa v24, v24, v41 dst_sel:DWORD dst_unused:UNUSED_PAD src0_sel:DWORD src1_sel:WORD_1
	v_fma_f16 v24, v38, v41, -v24
	v_mul_f16_sdwa v27, v26, v34 dst_sel:DWORD dst_unused:UNUSED_PAD src0_sel:DWORD src1_sel:WORD_1
	v_fma_f16 v27, v34, v24, -v27
	v_mul_f16_sdwa v24, v24, v34 dst_sel:DWORD dst_unused:UNUSED_PAD src0_sel:DWORD src1_sel:WORD_1
	v_fma_f16 v24, v34, v26, v24
	v_lshrrev_b32_e32 v26, 16, v43
	s_waitcnt vmcnt(7)
	v_mul_f16_sdwa v29, v26, v10 dst_sel:DWORD dst_unused:UNUSED_PAD src0_sel:DWORD src1_sel:WORD_1
	v_mul_f16_sdwa v32, v43, v10 dst_sel:DWORD dst_unused:UNUSED_PAD src0_sel:DWORD src1_sel:WORD_1
	v_fma_f16 v29, v43, v10, -v29
	v_fma_f16 v10, v26, v10, v32
	v_mul_f16_sdwa v26, v10, v42 dst_sel:DWORD dst_unused:UNUSED_PAD src0_sel:DWORD src1_sel:WORD_1
	v_fma_f16 v26, v42, v29, -v26
	v_mul_f16_sdwa v29, v29, v42 dst_sel:DWORD dst_unused:UNUSED_PAD src0_sel:DWORD src1_sel:WORD_1
	v_fma_f16 v10, v42, v10, v29
	s_waitcnt vmcnt(6)
	v_lshrrev_b32_e32 v29, 16, v30
	s_waitcnt vmcnt(5)
	v_mul_f16_sdwa v32, v29, v31 dst_sel:DWORD dst_unused:UNUSED_PAD src0_sel:DWORD src1_sel:WORD_1
	v_fma_f16 v32, v30, v31, -v32
	v_mul_f16_sdwa v30, v30, v31 dst_sel:DWORD dst_unused:UNUSED_PAD src0_sel:DWORD src1_sel:WORD_1
	v_fma_f16 v29, v29, v31, v30
	s_waitcnt vmcnt(1)
	v_mul_f16_sdwa v31, v32, v45 dst_sel:DWORD dst_unused:UNUSED_PAD src0_sel:DWORD src1_sel:WORD_1
	v_mul_f16_sdwa v30, v29, v45 dst_sel:DWORD dst_unused:UNUSED_PAD src0_sel:DWORD src1_sel:WORD_1
	v_fma_f16 v29, v45, v29, v31
	s_waitcnt vmcnt(0)
	v_lshrrev_b32_e32 v31, 16, v23
	v_fma_f16 v30, v45, v32, -v30
	v_mul_f16_sdwa v32, v31, v35 dst_sel:DWORD dst_unused:UNUSED_PAD src0_sel:DWORD src1_sel:WORD_1
	v_fma_f16 v32, v23, v35, -v32
	v_mul_f16_sdwa v23, v23, v35 dst_sel:DWORD dst_unused:UNUSED_PAD src0_sel:DWORD src1_sel:WORD_1
	v_fma_f16 v23, v31, v35, v23
	v_mul_f16_sdwa v31, v23, v37 dst_sel:DWORD dst_unused:UNUSED_PAD src0_sel:DWORD src1_sel:WORD_1
	v_fma_f16 v31, v37, v32, -v31
	v_mul_f16_sdwa v32, v32, v37 dst_sel:DWORD dst_unused:UNUSED_PAD src0_sel:DWORD src1_sel:WORD_1
	v_fma_f16 v23, v37, v23, v32
	v_lshrrev_b32_e32 v32, 16, v6
	v_sub_f16_e32 v16, v32, v16
	v_sub_f16_e32 v38, v6, v39
	v_add_f16_e32 v34, v16, v11
	v_add_f16_e32 v35, v14, v19
	v_sub_f16_e32 v39, v38, v18
	v_fma_f16 v37, v35, s0, v34
	v_fma_f16 v41, v33, s0, v39
	;; [unrolled: 1-line block ×4, first 2 shown]
	v_mul_f16_e32 v42, v41, v9
	v_mul_f16_e32 v9, v37, v9
	v_fma_f16 v42, v37, v25, v42
	v_fma_f16 v9, v41, v25, -v9
	v_fma_f16 v25, v34, 2.0, -v37
	v_fma_f16 v37, v39, 2.0, -v41
	v_mul_f16_e32 v41, v37, v23
	v_fma_f16 v41, v25, v31, v41
	v_mul_f16_e32 v23, v25, v23
	v_lshlrev_b32_sdwa v25, v12, v28 dst_sel:DWORD dst_unused:UNUSED_PAD src0_sel:DWORD src1_sel:BYTE_0
	v_fma_f16 v23, v37, v31, -v23
	v_lshlrev_b32_sdwa v28, v12, v28 dst_sel:DWORD dst_unused:UNUSED_PAD src0_sel:DWORD src1_sel:BYTE_1
	global_load_dword v31, v25, s[16:17]
	global_load_dword v37, v28, s[16:17] offset:1024
	v_or_b32_e32 v25, 32, v8
	v_mul_lo_u32 v25, v5, v25
	v_mul_lo_u32 v5, v5, v8
	v_fma_f16 v6, v6, 2.0, -v38
	v_fma_f16 v11, v15, 2.0, -v17
	v_lshlrev_b32_sdwa v28, v12, v25 dst_sel:DWORD dst_unused:UNUSED_PAD src0_sel:DWORD src1_sel:BYTE_1
	v_lshlrev_b32_sdwa v43, v12, v5 dst_sel:DWORD dst_unused:UNUSED_PAD src0_sel:DWORD src1_sel:BYTE_1
	v_lshlrev_b32_sdwa v44, v12, v5 dst_sel:DWORD dst_unused:UNUSED_PAD src0_sel:DWORD src1_sel:BYTE_2
	v_lshlrev_b32_sdwa v45, v12, v25 dst_sel:DWORD dst_unused:UNUSED_PAD src0_sel:DWORD src1_sel:BYTE_2
	v_lshlrev_b32_sdwa v25, v12, v25 dst_sel:DWORD dst_unused:UNUSED_PAD src0_sel:DWORD src1_sel:BYTE_0
	global_load_dword v28, v28, s[16:17] offset:1024
	v_lshlrev_b32_sdwa v5, v12, v5 dst_sel:DWORD dst_unused:UNUSED_PAD src0_sel:DWORD src1_sel:BYTE_0
	global_load_dword v43, v43, s[16:17] offset:1024
	v_fma_f16 v12, v21, 2.0, -v18
	global_load_dword v44, v44, s[16:17] offset:2048
	v_fma_f16 v15, v32, 2.0, -v16
	global_load_dword v45, v45, s[16:17] offset:2048
	s_nop 0
	global_load_dword v18, v25, s[16:17]
	global_load_dword v21, v5, s[16:17]
	v_fma_f16 v5, v20, 2.0, -v19
	v_fma_f16 v17, v40, 2.0, -v22
	v_sub_f16_e32 v12, v15, v12
	v_sub_f16_e32 v5, v17, v5
	;; [unrolled: 1-line block ×4, first 2 shown]
	v_add_f16_e32 v19, v12, v5
	v_sub_f16_e32 v20, v7, v11
	v_mul_f16_e32 v25, v20, v24
	v_mul_f16_e32 v24, v19, v24
	v_fma_f16 v24, v20, v27, -v24
	v_fma_f16 v20, v7, 2.0, -v20
	v_fma_f16 v25, v19, v27, v25
	v_fma_f16 v19, v12, 2.0, -v19
	v_fma_f16 v16, v16, 2.0, -v34
	;; [unrolled: 1-line block ×8, first 2 shown]
	v_sub_f16_e32 v7, v12, v11
	v_sub_f16_e32 v5, v6, v5
	v_mul_f16_e32 v11, v5, v29
	v_mul_f16_e32 v13, v7, v29
	v_fma_f16 v11, v7, v30, v11
	v_fma_f16 v13, v5, v30, -v13
	v_fma_f16 v12, v12, 2.0, -v7
	v_fma_f16 v17, v6, 2.0, -v5
	s_waitcnt vmcnt(7)
	v_lshrrev_b32_e32 v46, 16, v31
	s_waitcnt vmcnt(6)
	v_mul_f16_sdwa v47, v46, v37 dst_sel:DWORD dst_unused:UNUSED_PAD src0_sel:DWORD src1_sel:WORD_1
	v_fma_f16 v47, v31, v37, -v47
	v_mul_f16_sdwa v31, v31, v37 dst_sel:DWORD dst_unused:UNUSED_PAD src0_sel:DWORD src1_sel:WORD_1
	v_fma_f16 v31, v46, v37, v31
	v_mul_f16_sdwa v46, v47, v36 dst_sel:DWORD dst_unused:UNUSED_PAD src0_sel:DWORD src1_sel:WORD_1
	v_mul_f16_sdwa v37, v31, v36 dst_sel:DWORD dst_unused:UNUSED_PAD src0_sel:DWORD src1_sel:WORD_1
	v_fma_f16 v31, v36, v31, v46
	v_fma_f16 v37, v36, v47, -v37
	v_mul_f16_e32 v27, v20, v31
	v_fma_f16 v27, v19, v37, v27
	v_mul_f16_e32 v19, v19, v31
	v_fma_f16 v19, v20, v37, -v19
	s_waitcnt vmcnt(1)
	v_lshrrev_b32_e32 v20, 16, v18
	v_mul_f16_sdwa v31, v20, v28 dst_sel:DWORD dst_unused:UNUSED_PAD src0_sel:DWORD src1_sel:WORD_1
	v_fma_f16 v31, v18, v28, -v31
	v_mul_f16_sdwa v18, v18, v28 dst_sel:DWORD dst_unused:UNUSED_PAD src0_sel:DWORD src1_sel:WORD_1
	v_fma_f16 v18, v20, v28, v18
	v_mul_f16_sdwa v20, v18, v45 dst_sel:DWORD dst_unused:UNUSED_PAD src0_sel:DWORD src1_sel:WORD_1
	v_mul_f16_sdwa v28, v31, v45 dst_sel:DWORD dst_unused:UNUSED_PAD src0_sel:DWORD src1_sel:WORD_1
	v_fma_f16 v20, v45, v31, -v20
	v_fma_f16 v18, v45, v18, v28
	v_fma_f16 v28, v38, 2.0, -v39
	v_fma_f16 v31, v14, s1, v16
	v_fma_f16 v31, v22, s0, v31
	;; [unrolled: 1-line block ×4, first 2 shown]
	v_mul_f16_e32 v22, v14, v10
	v_mul_f16_e32 v10, v31, v10
	v_fma_f16 v10, v14, v26, -v10
	v_fma_f16 v14, v28, 2.0, -v14
	s_movk_i32 s0, 0x300
	v_fma_f16 v22, v31, v26, v22
	v_fma_f16 v16, v16, 2.0, -v31
	v_mul_f16_e32 v26, v14, v18
	v_and_or_b32 v8, v0, s0, v8
	v_fma_f16 v26, v16, v20, v26
	v_mul_f16_e32 v16, v16, v18
	s_waitcnt vmcnt(0)
	v_lshrrev_b32_e32 v7, 16, v21
	v_mad_u64_u32 v[5:6], s[0:1], s8, v8, 0
	v_fma_f16 v14, v14, v20, -v16
	v_mul_f16_sdwa v15, v7, v43 dst_sel:DWORD dst_unused:UNUSED_PAD src0_sel:DWORD src1_sel:WORD_1
	v_mul_f16_sdwa v16, v21, v43 dst_sel:DWORD dst_unused:UNUSED_PAD src0_sel:DWORD src1_sel:WORD_1
	v_fma_f16 v15, v21, v43, -v15
	v_fma_f16 v7, v7, v43, v16
	v_mul_f16_sdwa v16, v7, v44 dst_sel:DWORD dst_unused:UNUSED_PAD src0_sel:DWORD src1_sel:WORD_1
	v_mul_f16_sdwa v0, v15, v44 dst_sel:DWORD dst_unused:UNUSED_PAD src0_sel:DWORD src1_sel:WORD_1
	v_fma_f16 v16, v44, v15, -v16
	v_fma_f16 v15, v44, v7, v0
	v_mov_b32_e32 v0, v6
	v_mul_f16_e32 v18, v17, v15
	v_mad_u64_u32 v[6:7], s[0:1], s9, v8, v[0:1]
	v_mul_f16_e32 v0, v12, v15
	v_fma_f16 v7, v12, v16, v18
	v_fma_f16 v12, v17, v16, -v0
	v_lshlrev_b64 v[0:1], 2, v[1:2]
	v_mov_b32_e32 v2, s13
	v_add_co_u32_e32 v15, vcc, s12, v0
	v_addc_co_u32_e32 v16, vcc, v2, v1, vcc
	v_lshlrev_b64 v[0:1], 2, v[3:4]
	v_or_b32_e32 v4, 32, v8
	v_mad_u64_u32 v[2:3], s[0:1], s8, v4, 0
	v_add_co_u32_e32 v15, vcc, v15, v0
	v_addc_co_u32_e32 v16, vcc, v16, v1, vcc
	v_lshlrev_b64 v[0:1], 2, v[5:6]
	v_mad_u64_u32 v[3:4], s[0:1], s9, v4, v[3:4]
	v_add_co_u32_e32 v0, vcc, v15, v0
	v_addc_co_u32_e32 v1, vcc, v16, v1, vcc
	v_pack_b32_f16 v4, v12, v7
	global_store_dword v[0:1], v4, off
	v_or_b32_e32 v4, 64, v8
	v_lshlrev_b64 v[0:1], 2, v[2:3]
	v_mad_u64_u32 v[2:3], s[0:1], s8, v4, 0
	v_or_b32_e32 v7, 0x60, v8
	v_add_co_u32_e32 v0, vcc, v15, v0
	v_mad_u64_u32 v[3:4], s[0:1], s9, v4, v[3:4]
	v_mad_u64_u32 v[4:5], s[0:1], s8, v7, 0
	v_addc_co_u32_e32 v1, vcc, v16, v1, vcc
	v_pack_b32_f16 v6, v14, v26
	global_store_dword v[0:1], v6, off
	v_lshlrev_b64 v[0:1], 2, v[2:3]
	v_mov_b32_e32 v2, v5
	v_mad_u64_u32 v[2:3], s[0:1], s9, v7, v[2:3]
	v_add_co_u32_e32 v0, vcc, v15, v0
	v_addc_co_u32_e32 v1, vcc, v16, v1, vcc
	v_pack_b32_f16 v3, v19, v27
	v_mov_b32_e32 v5, v2
	global_store_dword v[0:1], v3, off
	v_lshlrev_b64 v[0:1], 2, v[4:5]
	v_or_b32_e32 v4, 0x80, v8
	v_mad_u64_u32 v[2:3], s[0:1], s8, v4, 0
	v_or_b32_e32 v7, 0xa0, v8
	v_add_co_u32_e32 v0, vcc, v15, v0
	v_mad_u64_u32 v[3:4], s[0:1], s9, v4, v[3:4]
	v_mad_u64_u32 v[4:5], s[0:1], s8, v7, 0
	v_addc_co_u32_e32 v1, vcc, v16, v1, vcc
	v_pack_b32_f16 v6, v23, v41
	global_store_dword v[0:1], v6, off
	v_lshlrev_b64 v[0:1], 2, v[2:3]
	v_mov_b32_e32 v2, v5
	v_mad_u64_u32 v[2:3], s[0:1], s9, v7, v[2:3]
	v_add_co_u32_e32 v0, vcc, v15, v0
	v_addc_co_u32_e32 v1, vcc, v16, v1, vcc
	v_pack_b32_f16 v3, v13, v11
	v_mov_b32_e32 v5, v2
	global_store_dword v[0:1], v3, off
	v_lshlrev_b64 v[0:1], 2, v[4:5]
	v_or_b32_e32 v4, 0xc0, v8
	v_mad_u64_u32 v[2:3], s[0:1], s8, v4, 0
	v_or_b32_e32 v7, 0xe0, v8
	v_add_co_u32_e32 v0, vcc, v15, v0
	v_mad_u64_u32 v[3:4], s[0:1], s9, v4, v[3:4]
	v_mad_u64_u32 v[4:5], s[0:1], s8, v7, 0
	v_addc_co_u32_e32 v1, vcc, v16, v1, vcc
	v_pack_b32_f16 v6, v10, v22
	global_store_dword v[0:1], v6, off
	v_lshlrev_b64 v[0:1], 2, v[2:3]
	v_mov_b32_e32 v2, v5
	v_mad_u64_u32 v[2:3], s[0:1], s9, v7, v[2:3]
	v_add_co_u32_e32 v0, vcc, v15, v0
	v_addc_co_u32_e32 v1, vcc, v16, v1, vcc
	v_pack_b32_f16 v3, v24, v25
	v_mov_b32_e32 v5, v2
	global_store_dword v[0:1], v3, off
	v_lshlrev_b64 v[0:1], 2, v[4:5]
	v_pack_b32_f16 v2, v9, v42
	v_add_co_u32_e32 v0, vcc, v15, v0
	v_addc_co_u32_e32 v1, vcc, v16, v1, vcc
	global_store_dword v[0:1], v2, off
.LBB0_13:
	s_endpgm
	.section	.rodata,"a",@progbits
	.p2align	6, 0x0
	.amdhsa_kernel fft_rtc_fwd_len256_factors_8_4_8_wgs_256_tpt_32_half_ip_CI_sbcc_twdbase8_3step_dirReg_intrinsicRead
		.amdhsa_group_segment_fixed_size 0
		.amdhsa_private_segment_fixed_size 0
		.amdhsa_kernarg_size 96
		.amdhsa_user_sgpr_count 6
		.amdhsa_user_sgpr_private_segment_buffer 1
		.amdhsa_user_sgpr_dispatch_ptr 0
		.amdhsa_user_sgpr_queue_ptr 0
		.amdhsa_user_sgpr_kernarg_segment_ptr 1
		.amdhsa_user_sgpr_dispatch_id 0
		.amdhsa_user_sgpr_flat_scratch_init 0
		.amdhsa_user_sgpr_private_segment_size 0
		.amdhsa_uses_dynamic_stack 0
		.amdhsa_system_sgpr_private_segment_wavefront_offset 0
		.amdhsa_system_sgpr_workgroup_id_x 1
		.amdhsa_system_sgpr_workgroup_id_y 0
		.amdhsa_system_sgpr_workgroup_id_z 0
		.amdhsa_system_sgpr_workgroup_info 0
		.amdhsa_system_vgpr_workitem_id 0
		.amdhsa_next_free_vgpr 48
		.amdhsa_next_free_sgpr 43
		.amdhsa_reserve_vcc 1
		.amdhsa_reserve_flat_scratch 0
		.amdhsa_float_round_mode_32 0
		.amdhsa_float_round_mode_16_64 0
		.amdhsa_float_denorm_mode_32 3
		.amdhsa_float_denorm_mode_16_64 3
		.amdhsa_dx10_clamp 1
		.amdhsa_ieee_mode 1
		.amdhsa_fp16_overflow 0
		.amdhsa_exception_fp_ieee_invalid_op 0
		.amdhsa_exception_fp_denorm_src 0
		.amdhsa_exception_fp_ieee_div_zero 0
		.amdhsa_exception_fp_ieee_overflow 0
		.amdhsa_exception_fp_ieee_underflow 0
		.amdhsa_exception_fp_ieee_inexact 0
		.amdhsa_exception_int_div_zero 0
	.end_amdhsa_kernel
	.text
.Lfunc_end0:
	.size	fft_rtc_fwd_len256_factors_8_4_8_wgs_256_tpt_32_half_ip_CI_sbcc_twdbase8_3step_dirReg_intrinsicRead, .Lfunc_end0-fft_rtc_fwd_len256_factors_8_4_8_wgs_256_tpt_32_half_ip_CI_sbcc_twdbase8_3step_dirReg_intrinsicRead
                                        ; -- End function
	.section	.AMDGPU.csdata,"",@progbits
; Kernel info:
; codeLenInByte = 5184
; NumSgprs: 47
; NumVgprs: 48
; ScratchSize: 0
; MemoryBound: 0
; FloatMode: 240
; IeeeMode: 1
; LDSByteSize: 0 bytes/workgroup (compile time only)
; SGPRBlocks: 5
; VGPRBlocks: 11
; NumSGPRsForWavesPerEU: 47
; NumVGPRsForWavesPerEU: 48
; Occupancy: 5
; WaveLimiterHint : 1
; COMPUTE_PGM_RSRC2:SCRATCH_EN: 0
; COMPUTE_PGM_RSRC2:USER_SGPR: 6
; COMPUTE_PGM_RSRC2:TRAP_HANDLER: 0
; COMPUTE_PGM_RSRC2:TGID_X_EN: 1
; COMPUTE_PGM_RSRC2:TGID_Y_EN: 0
; COMPUTE_PGM_RSRC2:TGID_Z_EN: 0
; COMPUTE_PGM_RSRC2:TIDIG_COMP_CNT: 0
	.type	__hip_cuid_44a27736b0f19571,@object ; @__hip_cuid_44a27736b0f19571
	.section	.bss,"aw",@nobits
	.globl	__hip_cuid_44a27736b0f19571
__hip_cuid_44a27736b0f19571:
	.byte	0                               ; 0x0
	.size	__hip_cuid_44a27736b0f19571, 1

	.ident	"AMD clang version 19.0.0git (https://github.com/RadeonOpenCompute/llvm-project roc-6.4.0 25133 c7fe45cf4b819c5991fe208aaa96edf142730f1d)"
	.section	".note.GNU-stack","",@progbits
	.addrsig
	.addrsig_sym __hip_cuid_44a27736b0f19571
	.amdgpu_metadata
---
amdhsa.kernels:
  - .args:
      - .actual_access:  read_only
        .address_space:  global
        .offset:         0
        .size:           8
        .value_kind:     global_buffer
      - .address_space:  global
        .offset:         8
        .size:           8
        .value_kind:     global_buffer
      - .offset:         16
        .size:           8
        .value_kind:     by_value
      - .actual_access:  read_only
        .address_space:  global
        .offset:         24
        .size:           8
        .value_kind:     global_buffer
      - .actual_access:  read_only
        .address_space:  global
        .offset:         32
        .size:           8
        .value_kind:     global_buffer
      - .offset:         40
        .size:           8
        .value_kind:     by_value
      - .actual_access:  read_only
        .address_space:  global
        .offset:         48
        .size:           8
        .value_kind:     global_buffer
      - .actual_access:  read_only
        .address_space:  global
        .offset:         56
        .size:           8
        .value_kind:     global_buffer
      - .offset:         64
        .size:           4
        .value_kind:     by_value
      - .actual_access:  read_only
        .address_space:  global
        .offset:         72
        .size:           8
        .value_kind:     global_buffer
      - .actual_access:  read_only
        .address_space:  global
        .offset:         80
        .size:           8
        .value_kind:     global_buffer
      - .address_space:  global
        .offset:         88
        .size:           8
        .value_kind:     global_buffer
    .group_segment_fixed_size: 0
    .kernarg_segment_align: 8
    .kernarg_segment_size: 96
    .language:       OpenCL C
    .language_version:
      - 2
      - 0
    .max_flat_workgroup_size: 256
    .name:           fft_rtc_fwd_len256_factors_8_4_8_wgs_256_tpt_32_half_ip_CI_sbcc_twdbase8_3step_dirReg_intrinsicRead
    .private_segment_fixed_size: 0
    .sgpr_count:     47
    .sgpr_spill_count: 0
    .symbol:         fft_rtc_fwd_len256_factors_8_4_8_wgs_256_tpt_32_half_ip_CI_sbcc_twdbase8_3step_dirReg_intrinsicRead.kd
    .uniform_work_group_size: 1
    .uses_dynamic_stack: false
    .vgpr_count:     48
    .vgpr_spill_count: 0
    .wavefront_size: 64
amdhsa.target:   amdgcn-amd-amdhsa--gfx906
amdhsa.version:
  - 1
  - 2
...

	.end_amdgpu_metadata
